;; amdgpu-corpus repo=ROCm/rocFFT kind=compiled arch=gfx1030 opt=O3
	.text
	.amdgcn_target "amdgcn-amd-amdhsa--gfx1030"
	.amdhsa_code_object_version 6
	.protected	bluestein_single_fwd_len2187_dim1_dp_op_CI_CI ; -- Begin function bluestein_single_fwd_len2187_dim1_dp_op_CI_CI
	.globl	bluestein_single_fwd_len2187_dim1_dp_op_CI_CI
	.p2align	8
	.type	bluestein_single_fwd_len2187_dim1_dp_op_CI_CI,@function
bluestein_single_fwd_len2187_dim1_dp_op_CI_CI: ; @bluestein_single_fwd_len2187_dim1_dp_op_CI_CI
; %bb.0:
	s_load_dwordx4 s[12:15], s[4:5], 0x28
	v_mul_u32_u24_e32 v1, 0x10e, v0
	s_mov_b64 s[22:23], s[2:3]
	s_mov_b64 s[20:21], s[0:1]
	v_mov_b32_e32 v3, 0
	s_add_u32 s20, s20, s7
	v_lshrrev_b32_e32 v1, 16, v1
	s_addc_u32 s21, s21, 0
	s_mov_b32 s0, exec_lo
	v_add_nc_u32_e32 v2, s6, v1
	s_waitcnt lgkmcnt(0)
	v_cmpx_gt_u64_e64 s[12:13], v[2:3]
	s_cbranch_execz .LBB0_2
; %bb.1:
	s_clause 0x1
	s_load_dwordx4 s[0:3], s[4:5], 0x18
	s_load_dwordx4 s[8:11], s[4:5], 0x0
	v_mul_lo_u16 v1, 0xf3, v1
	v_mov_b32_e32 v140, 4
	s_load_dwordx2 s[4:5], s[4:5], 0x38
	v_sub_nc_u16 v108, v0, v1
	v_and_b32_e32 v3, 0xffff, v108
	v_and_b32_e32 v109, 0xff, v108
	v_lshlrev_b32_e32 v173, 4, v3
	v_mov_b32_e32 v171, v3
	v_add_co_u32 v142, null, 0xf3, v3
	s_waitcnt lgkmcnt(0)
	s_load_dwordx4 s[16:19], s[0:1], 0x0
	v_add_co_u32 v175, s0, s8, v173
	v_add_co_ci_u32_e64 v176, null, s9, 0, s0
	global_load_dwordx4 v[179:182], v173, s[8:9]
	v_add_co_u32 v141, null, 0x1e6, v3
	s_mov_b32 s9, 0xbfebb67a
	s_waitcnt lgkmcnt(0)
	v_mad_u64_u32 v[4:5], null, s18, v2, 0
	v_mad_u64_u32 v[6:7], null, s16, v3, 0
	s_mul_i32 s0, s17, 0x2d90
	s_mul_hi_u32 s1, s16, 0x2d90
	s_mul_i32 s6, s16, 0x2d90
	s_add_i32 s1, s1, s0
	v_mov_b32_e32 v0, v5
	s_mul_i32 s0, s17, 0xffffb410
	v_mov_b32_e32 v5, v7
	s_sub_i32 s0, s0, s16
	v_mad_u64_u32 v[7:8], null, s19, v2, v[0:1]
	v_mad_u64_u32 v[8:9], null, s17, v3, v[5:6]
	v_add_co_u32 v9, vcc_lo, 0x2800, v175
	v_add_co_ci_u32_e32 v10, vcc_lo, 0, v176, vcc_lo
	v_mov_b32_e32 v5, v7
	v_add_co_u32 v11, vcc_lo, 0x5800, v175
	v_mov_b32_e32 v7, v8
	v_add_co_ci_u32_e32 v12, vcc_lo, 0, v176, vcc_lo
	v_lshlrev_b64 v[4:5], 4, v[4:5]
	v_lshlrev_b64 v[6:7], 4, v[6:7]
	v_add_co_u32 v0, vcc_lo, s14, v4
	v_add_co_ci_u32_e32 v1, vcc_lo, s15, v5, vcc_lo
	v_add_co_u32 v28, vcc_lo, v0, v6
	v_add_co_ci_u32_e32 v29, vcc_lo, v1, v7, vcc_lo
	v_mov_b32_e32 v0, 0xaaab
	v_add_co_u32 v30, vcc_lo, v28, s6
	v_add_co_ci_u32_e32 v31, vcc_lo, s1, v29, vcc_lo
	v_add_co_u32 v4, vcc_lo, 0x800, v175
	v_add_co_ci_u32_e32 v5, vcc_lo, 0, v176, vcc_lo
	;; [unrolled: 2-line block ×4, first 2 shown]
	v_mad_u64_u32 v[34:35], null, 0xffffb410, s16, v[32:33]
	v_add_co_u32 v36, vcc_lo, 0x6800, v175
	v_add_co_ci_u32_e32 v37, vcc_lo, 0, v176, vcc_lo
	v_add_co_u32 v38, vcc_lo, 0x1800, v175
	v_add_co_ci_u32_e32 v39, vcc_lo, 0, v176, vcc_lo
	v_add_nc_u32_e32 v35, s0, v35
	v_add_co_u32 v64, vcc_lo, 0x4800, v175
	v_add_co_ci_u32_e32 v65, vcc_lo, 0, v176, vcc_lo
	v_add_co_u32 v52, vcc_lo, v34, s6
	v_add_co_ci_u32_e32 v53, vcc_lo, s1, v35, vcc_lo
	;; [unrolled: 2-line block ×4, first 2 shown]
	s_clause 0x5
	global_load_dwordx4 v[24:27], v[9:10], off offset:1424
	global_load_dwordx4 v[20:23], v[11:12], off offset:800
	;; [unrolled: 1-line block ×6, first 2 shown]
	s_clause 0x4
	global_load_dwordx4 v[36:39], v[28:29], off
	global_load_dwordx4 v[40:43], v[30:31], off
	;; [unrolled: 1-line block ×5, first 2 shown]
	v_mad_u64_u32 v[60:61], null, 0xffffb410, s16, v[56:57]
	global_load_dwordx4 v[56:59], v[56:57], off
	v_mul_lo_u16 v1, 0xab, v109
	v_add_nc_u32_e32 v61, s0, v61
	v_add_co_u32 v32, vcc_lo, v60, s6
	v_add_co_ci_u32_e32 v33, vcc_lo, s1, v61, vcc_lo
	v_add_co_u32 v70, vcc_lo, v32, s6
	s_mov_b32 s6, 0xe8584caa
	v_add_co_ci_u32_e32 v71, vcc_lo, s1, v33, vcc_lo
	global_load_dwordx4 v[60:63], v[60:61], off
	global_load_dwordx4 v[28:31], v[64:65], off offset:1008
	global_load_dwordx4 v[64:67], v[32:33], off
	global_load_dwordx4 v[32:35], v[68:69], off offset:384
	global_load_dwordx4 v[68:71], v[70:71], off
	s_load_dwordx4 s[0:3], s[2:3], 0x0
	s_mov_b32 s7, 0x3febb67a
	s_mov_b32 s8, s6
	s_waitcnt vmcnt(10)
	v_mul_f64 v[72:73], v[38:39], v[181:182]
	v_mul_f64 v[74:75], v[36:37], v[181:182]
	s_waitcnt vmcnt(9)
	v_mul_f64 v[76:77], v[42:43], v[26:27]
	v_mul_f64 v[78:79], v[40:41], v[26:27]
	;; [unrolled: 3-line block ×9, first 2 shown]
	v_fma_f64 v[36:37], v[36:37], v[179:180], v[72:73]
	v_fma_f64 v[38:39], v[38:39], v[179:180], -v[74:75]
	v_fma_f64 v[40:41], v[40:41], v[24:25], v[76:77]
	v_fma_f64 v[42:43], v[42:43], v[24:25], -v[78:79]
	;; [unrolled: 2-line block ×9, first 2 shown]
	ds_write_b128 v173, v[36:39]
	ds_write_b128 v173, v[40:43] offset:11664
	ds_write_b128 v173, v[44:47] offset:23328
	;; [unrolled: 1-line block ×8, first 2 shown]
	s_waitcnt lgkmcnt(0)
	s_barrier
	buffer_gl0_inv
	ds_read_b128 v[36:39], v173 offset:11664
	ds_read_b128 v[40:43], v173 offset:23328
	;; [unrolled: 1-line block ×6, first 2 shown]
	ds_read_b128 v[64:67], v173
	ds_read_b128 v[68:71], v173 offset:3888
	ds_read_b128 v[72:75], v173 offset:7776
	buffer_store_dword v171, off, s[20:23], 0 offset:16 ; 4-byte Folded Spill
	buffer_store_dword v2, off, s[20:23], 0 ; 4-byte Folded Spill
	buffer_store_dword v3, off, s[20:23], 0 offset:4 ; 4-byte Folded Spill
	v_mul_u32_u24_sdwa v2, v142, v0 dst_sel:DWORD dst_unused:UNUSED_PAD src0_sel:WORD_0 src1_sel:DWORD
	v_lshrrev_b16 v62, 9, v1
	v_mul_u32_u24_sdwa v0, v141, v0 dst_sel:DWORD dst_unused:UNUSED_PAD src0_sel:WORD_0 src1_sel:DWORD
	v_mul_lo_u16 v1, v108, 3
	v_mul_u32_u24_e32 v3, 3, v141
	v_lshrrev_b32_e32 v63, 17, v2
	v_mul_lo_u16 v2, v62, 3
	v_lshrrev_b32_e32 v60, 17, v0
	v_lshlrev_b32_sdwa v102, v140, v1 dst_sel:DWORD dst_unused:UNUSED_PAD src0_sel:DWORD src1_sel:WORD_0
	v_lshlrev_b32_e32 v3, 4, v3
	v_mul_lo_u16 v0, v63, 3
	v_sub_nc_u16 v1, v108, v2
	s_waitcnt lgkmcnt(7)
	v_add_f64 v[76:77], v[36:37], v[40:41]
	v_add_f64 v[78:79], v[38:39], v[42:43]
	s_waitcnt lgkmcnt(5)
	v_add_f64 v[80:81], v[48:49], v[44:45]
	v_add_f64 v[82:83], v[50:51], v[46:47]
	;; [unrolled: 3-line block ×3, first 2 shown]
	s_waitcnt lgkmcnt(2)
	v_add_f64 v[88:89], v[64:65], v[36:37]
	v_add_f64 v[90:91], v[38:39], -v[42:43]
	v_add_f64 v[38:39], v[66:67], v[38:39]
	v_add_f64 v[100:101], v[36:37], -v[40:41]
	s_waitcnt lgkmcnt(1)
	v_add_f64 v[92:93], v[68:69], v[48:49]
	v_add_f64 v[94:95], v[70:71], v[50:51]
	s_waitcnt lgkmcnt(0)
	v_add_f64 v[96:97], v[72:73], v[52:53]
	v_add_f64 v[98:99], v[74:75], v[54:55]
	v_mul_lo_u16 v2, v60, 3
	v_and_b32_e32 v61, 0xff, v1
	buffer_store_dword v102, off, s[20:23], 0 offset:12 ; 4-byte Folded Spill
	buffer_store_dword v3, off, s[20:23], 0 offset:8 ; 4-byte Folded Spill
	s_waitcnt_vscnt null, 0x0
	s_barrier
	buffer_gl0_inv
	v_fma_f64 v[76:77], v[76:77], -0.5, v[64:65]
	v_fma_f64 v[65:66], v[78:79], -0.5, v[66:67]
	v_add_f64 v[78:79], v[50:51], -v[46:47]
	v_fma_f64 v[67:68], v[80:81], -0.5, v[68:69]
	v_add_f64 v[80:81], v[48:49], -v[44:45]
	;; [unrolled: 2-line block ×4, first 2 shown]
	v_fma_f64 v[86:87], v[86:87], -0.5, v[74:75]
	v_add_f64 v[36:37], v[88:89], v[40:41]
	v_add_f64 v[38:39], v[38:39], v[42:43]
	;; [unrolled: 1-line block ×6, first 2 shown]
	v_sub_nc_u16 v64, v142, v0
	v_mul_u32_u24_e32 v0, 3, v142
	v_lshlrev_b16 v1, 1, v64
	v_fma_f64 v[48:49], v[90:91], s[6:7], v[76:77]
	v_fma_f64 v[50:51], v[100:101], s[8:9], v[65:66]
	;; [unrolled: 1-line block ×12, first 2 shown]
	v_sub_nc_u16 v65, v141, v2
	v_lshlrev_b32_e32 v174, 4, v0
	v_lshlrev_b32_e32 v0, 5, v61
	v_lshlrev_b32_sdwa v1, v140, v1 dst_sel:DWORD dst_unused:UNUSED_PAD src0_sel:DWORD src1_sel:WORD_0
	ds_write_b128 v102, v[36:39]
	ds_write_b128 v102, v[48:51] offset:16
	ds_write_b128 v102, v[52:55] offset:32
	ds_write_b128 v174, v[40:43]
	ds_write_b128 v174, v[56:59] offset:16
	ds_write_b128 v174, v[66:69] offset:32
	;; [unrolled: 3-line block ×3, first 2 shown]
	v_lshlrev_b16 v2, 1, v65
	s_waitcnt lgkmcnt(0)
	s_barrier
	buffer_gl0_inv
	s_clause 0x1
	global_load_dwordx4 v[48:51], v0, s[10:11]
	global_load_dwordx4 v[44:47], v0, s[10:11] offset:16
	v_lshlrev_b32_sdwa v0, v140, v2 dst_sel:DWORD dst_unused:UNUSED_PAD src0_sel:DWORD src1_sel:WORD_0
	s_clause 0x3
	global_load_dwordx4 v[40:43], v1, s[10:11]
	global_load_dwordx4 v[36:39], v1, s[10:11] offset:16
	global_load_dwordx4 v[56:59], v0, s[10:11]
	global_load_dwordx4 v[52:55], v0, s[10:11] offset:16
	ds_read_b128 v[66:69], v173 offset:11664
	ds_read_b128 v[70:73], v173 offset:23328
	;; [unrolled: 1-line block ×7, first 2 shown]
	v_mov_b32_e32 v0, 0xe38f
	v_mul_lo_u16 v2, v109, 57
	v_mov_b32_e32 v1, 9
	v_mul_u32_u24_sdwa v3, v142, v0 dst_sel:DWORD dst_unused:UNUSED_PAD src0_sel:WORD_0 src1_sel:DWORD
	v_mul_u32_u24_sdwa v0, v141, v0 dst_sel:DWORD dst_unused:UNUSED_PAD src0_sel:WORD_0 src1_sel:DWORD
	;; [unrolled: 1-line block ×3, first 2 shown]
	v_add_lshl_u32 v172, v1, v61, 4
	s_waitcnt vmcnt(5) lgkmcnt(6)
	v_mul_f64 v[94:95], v[68:69], v[50:51]
	s_waitcnt vmcnt(4) lgkmcnt(5)
	v_mul_f64 v[96:97], v[72:73], v[46:47]
	v_mul_f64 v[98:99], v[66:67], v[50:51]
	v_mul_f64 v[100:101], v[70:71], v[46:47]
	s_waitcnt vmcnt(3) lgkmcnt(4)
	v_mul_f64 v[102:103], v[76:77], v[42:43]
	s_waitcnt vmcnt(2) lgkmcnt(3)
	v_mul_f64 v[104:105], v[80:81], v[38:39]
	v_mul_f64 v[106:107], v[74:75], v[42:43]
	v_mul_f64 v[110:111], v[78:79], v[38:39]
	;; [unrolled: 6-line block ×3, first 2 shown]
	v_fma_f64 v[94:95], v[66:67], v[48:49], -v[94:95]
	v_fma_f64 v[96:97], v[70:71], v[44:45], -v[96:97]
	v_fma_f64 v[98:99], v[68:69], v[48:49], v[98:99]
	v_fma_f64 v[100:101], v[72:73], v[44:45], v[100:101]
	v_fma_f64 v[74:75], v[74:75], v[40:41], -v[102:103]
	v_fma_f64 v[78:79], v[78:79], v[36:37], -v[104:105]
	v_fma_f64 v[76:77], v[76:77], v[40:41], v[106:107]
	v_fma_f64 v[80:81], v[80:81], v[36:37], v[110:111]
	;; [unrolled: 4-line block ×3, first 2 shown]
	ds_read_b128 v[66:69], v173
	ds_read_b128 v[70:73], v173 offset:3888
	v_lshrrev_b16 v88, 9, v2
	v_lshrrev_b32_e32 v85, 19, v0
	v_lshrrev_b32_e32 v84, 19, v3
	v_mul_lo_u16 v0, v88, 9
	v_mul_lo_u16 v3, v85, 9
	;; [unrolled: 1-line block ×3, first 2 shown]
	v_add_f64 v[110:111], v[94:95], v[96:97]
	v_sub_nc_u16 v0, v108, v0
	v_add_f64 v[112:113], v[98:99], v[100:101]
	v_add_f64 v[124:125], v[98:99], -v[100:101]
	v_add_f64 v[114:115], v[74:75], v[78:79]
	v_add_f64 v[136:137], v[74:75], -v[78:79]
	;; [unrolled: 2-line block ×3, first 2 shown]
	v_add_f64 v[118:119], v[82:83], v[102:103]
	s_waitcnt lgkmcnt(1)
	v_add_f64 v[122:123], v[66:67], v[94:95]
	v_add_f64 v[120:121], v[104:105], v[106:107]
	;; [unrolled: 1-line block ×3, first 2 shown]
	v_add_f64 v[94:95], v[94:95], -v[96:97]
	s_waitcnt lgkmcnt(0)
	v_add_f64 v[126:127], v[70:71], v[74:75]
	v_add_f64 v[128:129], v[72:73], v[76:77]
	;; [unrolled: 1-line block ×4, first 2 shown]
	v_add_f64 v[104:105], v[104:105], -v[106:107]
	v_add_f64 v[82:83], v[82:83], -v[102:103]
	v_sub_nc_u16 v87, v141, v3
	v_and_b32_e32 v89, 0xff, v0
	v_mad_u16 v0, v63, 9, v64
	v_fma_f64 v[110:111], v[110:111], -0.5, v[66:67]
	v_mad_u16 v3, v60, 9, v65
	v_fma_f64 v[112:113], v[112:113], -0.5, v[68:69]
	v_sub_nc_u16 v86, v142, v2
	v_fma_f64 v[114:115], v[114:115], -0.5, v[70:71]
	v_lshlrev_b16 v60, 5, v87
	v_fma_f64 v[116:117], v[116:117], -0.5, v[72:73]
	v_lshlrev_b32_e32 v1, 5, v89
	v_fma_f64 v[118:119], v[118:119], -0.5, v[90:91]
	v_add_f64 v[62:63], v[122:123], v[96:97]
	v_fma_f64 v[120:121], v[120:121], -0.5, v[92:93]
	v_add_f64 v[64:65], v[98:99], v[100:101]
	v_lshlrev_b16 v2, 5, v86
	v_add_f64 v[66:67], v[126:127], v[78:79]
	v_add_f64 v[68:69], v[128:129], v[80:81]
	;; [unrolled: 1-line block ×4, first 2 shown]
	v_and_b32_e32 v2, 0xffff, v2
	v_lshlrev_b32_sdwa v255, v140, v0 dst_sel:DWORD dst_unused:UNUSED_PAD src0_sel:DWORD src1_sel:WORD_0
	v_and_b32_e32 v0, 0xffff, v60
	v_lshlrev_b32_sdwa v3, v140, v3 dst_sel:DWORD dst_unused:UNUSED_PAD src0_sel:DWORD src1_sel:WORD_0
	v_fma_f64 v[74:75], v[124:125], s[6:7], v[110:111]
	v_fma_f64 v[78:79], v[124:125], s[8:9], v[110:111]
	;; [unrolled: 1-line block ×12, first 2 shown]
	v_add_co_u32 v82, s12, s10, v2
	buffer_store_dword v3, off, s[20:23], 0 offset:20 ; 4-byte Folded Spill
	v_add_co_ci_u32_e64 v83, null, s11, 0, s12
	s_waitcnt_vscnt null, 0x0
	s_barrier
	buffer_gl0_inv
	ds_write_b128 v172, v[62:65]
	ds_write_b128 v172, v[74:77] offset:48
	ds_write_b128 v172, v[78:81] offset:96
	ds_write_b128 v255, v[66:69]
	ds_write_b128 v255, v[90:93] offset:48
	ds_write_b128 v255, v[94:97] offset:96
	;; [unrolled: 3-line block ×3, first 2 shown]
	s_waitcnt lgkmcnt(0)
	s_barrier
	buffer_gl0_inv
	s_clause 0x1
	global_load_dwordx4 v[64:67], v1, s[10:11] offset:96
	global_load_dwordx4 v[60:63], v1, s[10:11] offset:112
	v_add_co_u32 v76, s12, s10, v0
	v_add_co_ci_u32_e64 v77, null, s11, 0, s12
	s_clause 0x3
	global_load_dwordx4 v[72:75], v[82:83], off offset:96
	global_load_dwordx4 v[68:71], v[82:83], off offset:112
	;; [unrolled: 1-line block ×4, first 2 shown]
	ds_read_b128 v[90:93], v173 offset:11664
	ds_read_b128 v[94:97], v173 offset:23328
	ds_read_b128 v[98:101], v173 offset:15552
	ds_read_b128 v[102:105], v173 offset:27216
	ds_read_b128 v[110:113], v173 offset:19440
	ds_read_b128 v[114:117], v173 offset:31104
	v_mov_b32_e32 v0, 0x2f69
	v_mul_lo_u16 v3, v109, 19
	ds_read_b128 v[118:121], v173 offset:7776
	v_mul_u32_u24_sdwa v1, v142, v0 dst_sel:DWORD dst_unused:UNUSED_PAD src0_sel:WORD_0 src1_sel:DWORD
	v_mul_u32_u24_sdwa v0, v141, v0 dst_sel:DWORD dst_unused:UNUSED_PAD src0_sel:WORD_0 src1_sel:DWORD
	v_lshrrev_b32_e32 v1, 16, v1
	v_lshrrev_b32_e32 v0, 16, v0
	v_sub_nc_u16 v2, v142, v1
	v_lshrrev_b16 v2, 1, v2
	v_add_nc_u16 v1, v2, v1
	s_waitcnt vmcnt(5) lgkmcnt(6)
	v_mul_f64 v[106:107], v[92:93], v[66:67]
	s_waitcnt vmcnt(4) lgkmcnt(5)
	v_mul_f64 v[122:123], v[96:97], v[62:63]
	v_mul_f64 v[124:125], v[90:91], v[66:67]
	v_mul_f64 v[126:127], v[94:95], v[62:63]
	s_waitcnt vmcnt(3) lgkmcnt(4)
	v_mul_f64 v[128:129], v[100:101], v[74:75]
	s_waitcnt vmcnt(2) lgkmcnt(3)
	v_mul_f64 v[130:131], v[104:105], v[70:71]
	v_mul_f64 v[132:133], v[98:99], v[74:75]
	v_mul_f64 v[134:135], v[102:103], v[70:71]
	;; [unrolled: 6-line block ×3, first 2 shown]
	v_fma_f64 v[106:107], v[90:91], v[64:65], -v[106:107]
	v_fma_f64 v[122:123], v[94:95], v[60:61], -v[122:123]
	v_fma_f64 v[124:125], v[92:93], v[64:65], v[124:125]
	v_fma_f64 v[126:127], v[96:97], v[60:61], v[126:127]
	v_fma_f64 v[98:99], v[98:99], v[72:73], -v[128:129]
	v_fma_f64 v[102:103], v[102:103], v[68:69], -v[130:131]
	v_fma_f64 v[100:101], v[100:101], v[72:73], v[132:133]
	v_fma_f64 v[104:105], v[104:105], v[68:69], v[134:135]
	;; [unrolled: 4-line block ×3, first 2 shown]
	v_sub_nc_u16 v94, v141, v0
	ds_read_b128 v[90:93], v173
	v_lshrrev_b16 v111, 9, v3
	v_lshrrev_b16 v110, 4, v1
	v_mov_b32_e32 v113, 27
	v_lshrrev_b16 v3, 1, v94
	ds_read_b128 v[94:97], v173 offset:3888
	v_mul_lo_u16 v2, v111, 27
	s_waitcnt lgkmcnt(0)
	s_barrier
	v_add_nc_u16 v0, v3, v0
	v_add_f64 v[134:135], v[106:107], v[122:123]
	v_sub_nc_u16 v1, v108, v2
	v_add_f64 v[136:137], v[124:125], v[126:127]
	v_mul_u32_u24_sdwa v2, v88, v113 dst_sel:DWORD dst_unused:UNUSED_PAD src0_sel:WORD_0 src1_sel:DWORD
	v_add_f64 v[138:139], v[98:99], v[102:103]
	v_add_f64 v[163:164], v[98:99], -v[102:103]
	v_add_f64 v[143:144], v[100:101], v[104:105]
	v_add_f64 v[161:162], v[100:101], -v[104:105]
	v_add_f64 v[145:146], v[128:129], v[130:131]
	v_add_f64 v[159:160], v[120:121], v[132:133]
	;; [unrolled: 1-line block ×5, first 2 shown]
	v_add_f64 v[124:125], v[124:125], -v[126:127]
	v_add_f64 v[106:107], v[106:107], -v[122:123]
	v_add_f64 v[153:154], v[94:95], v[98:99]
	v_add_f64 v[155:156], v[96:97], v[100:101]
	;; [unrolled: 1-line block ×3, first 2 shown]
	v_add_f64 v[132:133], v[132:133], -v[116:117]
	v_add_f64 v[128:129], v[128:129], -v[130:131]
	v_lshrrev_b16 v112, 4, v0
	v_mul_lo_u16 v0, v110, 27
	v_fma_f64 v[134:135], v[134:135], -0.5, v[90:91]
	v_mad_u16 v3, v85, 27, v87
	v_fma_f64 v[136:137], v[136:137], -0.5, v[92:93]
	v_and_b32_e32 v114, 0xff, v1
	v_fma_f64 v[138:139], v[138:139], -0.5, v[94:95]
	v_sub_nc_u16 v113, v142, v0
	v_fma_f64 v[143:144], v[143:144], -0.5, v[96:97]
	v_mad_u16 v0, v84, 27, v86
	v_fma_f64 v[145:146], v[145:146], -0.5, v[118:119]
	v_mul_lo_u16 v1, v112, 27
	v_fma_f64 v[147:148], v[147:148], -0.5, v[120:121]
	v_add_f64 v[84:85], v[149:150], v[122:123]
	v_add_f64 v[86:87], v[151:152], v[126:127]
	v_add_lshl_u32 v183, v2, v89, 4
	v_add_f64 v[94:95], v[159:160], v[116:117]
	v_add_f64 v[88:89], v[153:154], v[102:103]
	;; [unrolled: 1-line block ×4, first 2 shown]
	v_sub_nc_u16 v115, v141, v1
	v_lshlrev_b16 v1, 5, v113
	v_lshlrev_b32_e32 v130, 5, v114
	v_lshlrev_b32_sdwa v185, v140, v0 dst_sel:DWORD dst_unused:UNUSED_PAD src0_sel:DWORD src1_sel:WORD_0
	v_fma_f64 v[96:97], v[124:125], s[6:7], v[134:135]
	v_fma_f64 v[100:101], v[124:125], s[8:9], v[134:135]
	;; [unrolled: 1-line block ×12, first 2 shown]
	v_lshlrev_b16 v2, 5, v115
	v_and_b32_e32 v1, 0xffff, v1
	v_lshlrev_b32_sdwa v184, v140, v3 dst_sel:DWORD dst_unused:UNUSED_PAD src0_sel:DWORD src1_sel:WORD_0
	buffer_gl0_inv
	ds_write_b128 v183, v[84:87]
	ds_write_b128 v183, v[96:99] offset:144
	ds_write_b128 v183, v[100:103] offset:288
	ds_write_b128 v185, v[88:91]
	ds_write_b128 v185, v[104:107] offset:144
	ds_write_b128 v185, v[116:119] offset:288
	;; [unrolled: 3-line block ×3, first 2 shown]
	v_and_b32_e32 v0, 0xffff, v2
	v_add_co_u32 v128, s12, s10, v1
	v_add_co_ci_u32_e64 v129, null, s11, 0, s12
	s_waitcnt lgkmcnt(0)
	s_barrier
	buffer_gl0_inv
	s_clause 0x1
	global_load_dwordx4 v[88:91], v130, s[10:11] offset:384
	global_load_dwordx4 v[84:87], v130, s[10:11] offset:400
	v_add_co_u32 v104, s12, s10, v0
	v_add_co_ci_u32_e64 v105, null, s11, 0, s12
	s_clause 0x3
	global_load_dwordx4 v[96:99], v[128:129], off offset:384
	global_load_dwordx4 v[92:95], v[128:129], off offset:400
	;; [unrolled: 1-line block ×4, first 2 shown]
	ds_read_b128 v[116:119], v173 offset:11664
	ds_read_b128 v[120:123], v173 offset:23328
	;; [unrolled: 1-line block ×7, first 2 shown]
	v_mul_lo_u16 v0, 0xcb, v109
	v_mov_b32_e32 v1, 0x6523
	v_mov_b32_e32 v2, 0x51
	v_mul_u32_u24_sdwa v2, v111, v2 dst_sel:DWORD dst_unused:UNUSED_PAD src0_sel:WORD_0 src1_sel:DWORD
	v_add_lshl_u32 v187, v2, v114, 4
	s_waitcnt vmcnt(5) lgkmcnt(6)
	v_mul_f64 v[147:148], v[118:119], v[90:91]
	s_waitcnt vmcnt(4) lgkmcnt(5)
	v_mul_f64 v[149:150], v[122:123], v[86:87]
	v_mul_f64 v[151:152], v[116:117], v[90:91]
	v_mul_f64 v[153:154], v[120:121], v[86:87]
	s_waitcnt vmcnt(3) lgkmcnt(4)
	v_mul_f64 v[155:156], v[126:127], v[98:99]
	s_waitcnt vmcnt(2) lgkmcnt(3)
	v_mul_f64 v[157:158], v[130:131], v[94:95]
	v_mul_f64 v[159:160], v[124:125], v[98:99]
	v_mul_f64 v[161:162], v[128:129], v[94:95]
	;; [unrolled: 6-line block ×3, first 2 shown]
	v_fma_f64 v[147:148], v[116:117], v[88:89], -v[147:148]
	v_fma_f64 v[149:150], v[120:121], v[84:85], -v[149:150]
	v_fma_f64 v[151:152], v[118:119], v[88:89], v[151:152]
	v_fma_f64 v[153:154], v[122:123], v[84:85], v[153:154]
	v_fma_f64 v[124:125], v[124:125], v[96:97], -v[155:156]
	v_fma_f64 v[128:129], v[128:129], v[92:93], -v[157:158]
	v_fma_f64 v[126:127], v[126:127], v[96:97], v[159:160]
	v_fma_f64 v[130:131], v[130:131], v[92:93], v[161:162]
	;; [unrolled: 4-line block ×3, first 2 shown]
	v_lshrrev_b16 v132, 14, v0
	v_mul_u32_u24_sdwa v0, v142, v1 dst_sel:DWORD dst_unused:UNUSED_PAD src0_sel:WORD_0 src1_sel:DWORD
	ds_read_b128 v[116:119], v173
	ds_read_b128 v[120:123], v173 offset:3888
	v_mul_u32_u24_sdwa v1, v141, v1 dst_sel:DWORD dst_unused:UNUSED_PAD src0_sel:WORD_0 src1_sel:DWORD
	v_mul_lo_u16 v3, 0x51, v132
	v_lshrrev_b32_e32 v133, 21, v0
	s_waitcnt lgkmcnt(0)
	s_barrier
	v_lshrrev_b32_e32 v134, 21, v1
	v_sub_nc_u16 v0, v108, v3
	v_add_f64 v[161:162], v[147:148], v[149:150]
	v_mul_lo_u16 v1, 0x51, v133
	v_add_f64 v[163:164], v[151:152], v[153:154]
	v_mul_lo_u16 v3, 0x51, v134
	v_add_f64 v[165:166], v[124:125], v[128:129]
	v_add_f64 v[202:203], v[124:125], -v[128:129]
	v_add_f64 v[108:109], v[126:127], v[130:131]
	v_add_f64 v[200:201], v[126:127], -v[130:131]
	v_add_f64 v[167:168], v[155:156], v[157:158]
	v_add_f64 v[196:197], v[145:146], v[159:160]
	;; [unrolled: 1-line block ×7, first 2 shown]
	v_add_f64 v[151:152], v[151:152], -v[153:154]
	v_add_f64 v[147:148], v[147:148], -v[149:150]
	v_add_f64 v[198:199], v[143:144], v[155:156]
	v_add_f64 v[159:160], v[159:160], -v[138:139]
	v_add_f64 v[204:205], v[155:156], -v[157:158]
	v_sub_nc_u16 v136, v142, v1
	v_sub_nc_u16 v137, v141, v3
	v_fma_f64 v[161:162], v[161:162], -0.5, v[116:117]
	v_and_b32_e32 v135, 0xff, v0
	v_fma_f64 v[163:164], v[163:164], -0.5, v[118:119]
	v_lshlrev_b16 v1, 5, v136
	v_fma_f64 v[165:166], v[165:166], -0.5, v[120:121]
	v_lshlrev_b16 v2, 5, v137
	v_fma_f64 v[108:109], v[108:109], -0.5, v[122:123]
	v_mad_u16 v3, 0x51, v110, v113
	v_fma_f64 v[167:168], v[167:168], -0.5, v[143:144]
	v_add_f64 v[126:127], v[196:197], v[138:139]
	v_fma_f64 v[169:170], v[169:170], -0.5, v[145:146]
	v_add_f64 v[118:119], v[188:189], v[153:154]
	v_add_f64 v[116:117], v[190:191], v[149:150]
	;; [unrolled: 1-line block ×4, first 2 shown]
	v_and_b32_e32 v1, 0xffff, v1
	v_lshlrev_b32_e32 v0, 5, v135
	v_add_f64 v[124:125], v[198:199], v[157:158]
	v_and_b32_e32 v2, 0xffff, v2
	v_lshlrev_b32_sdwa v188, v140, v3 dst_sel:DWORD dst_unused:UNUSED_PAD src0_sel:DWORD src1_sel:WORD_0
	v_add_co_u32 v138, s12, s10, v1
	v_fma_f64 v[128:129], v[151:152], s[6:7], v[161:162]
	v_fma_f64 v[143:144], v[151:152], s[8:9], v[161:162]
	;; [unrolled: 1-line block ×12, first 2 shown]
	v_mad_u16 v108, 0x51, v112, v115
	v_add_co_ci_u32_e64 v139, null, s11, 0, s12
	buffer_gl0_inv
	v_mad_u16 v177, 0xf3, v134, v137
	v_lshlrev_b32_sdwa v186, v140, v108 dst_sel:DWORD dst_unused:UNUSED_PAD src0_sel:DWORD src1_sel:WORD_0
	ds_write_b128 v187, v[116:119]
	ds_write_b128 v187, v[128:131] offset:432
	ds_write_b128 v187, v[143:146] offset:864
	ds_write_b128 v188, v[120:123]
	ds_write_b128 v188, v[147:150] offset:432
	ds_write_b128 v188, v[151:154] offset:864
	ds_write_b128 v186, v[124:127]
	ds_write_b128 v186, v[155:158] offset:432
	ds_write_b128 v186, v[159:162] offset:864
	s_waitcnt lgkmcnt(0)
	s_barrier
	buffer_gl0_inv
	s_clause 0x1
	global_load_dwordx4 v[112:115], v0, s[10:11] offset:1248
	global_load_dwordx4 v[108:111], v0, s[10:11] offset:1264
	v_add_co_u32 v128, s12, s10, v2
	v_add_co_ci_u32_e64 v129, null, s11, 0, s12
	s_clause 0x3
	global_load_dwordx4 v[120:123], v[138:139], off offset:1248
	global_load_dwordx4 v[116:119], v[138:139], off offset:1264
	;; [unrolled: 1-line block ×4, first 2 shown]
	ds_read_b128 v[143:146], v173 offset:11664
	ds_read_b128 v[147:150], v173 offset:23328
	;; [unrolled: 1-line block ×6, first 2 shown]
	v_mov_b32_e32 v0, 0xdb3
	ds_read_b128 v[167:170], v173 offset:7776
	v_lshlrev_b32_e32 v2, 5, v171
	v_mul_u32_u24_sdwa v0, v141, v0 dst_sel:DWORD dst_unused:UNUSED_PAD src0_sel:WORD_0 src1_sel:DWORD
	v_add_co_u32 v2, s12, s10, v2
	v_add_co_ci_u32_e64 v3, null, s11, 0, s12
	v_lshrrev_b32_e32 v0, 16, v0
	v_sub_nc_u16 v1, v141, v0
	v_lshrrev_b16 v1, 1, v1
	v_add_nc_u16 v0, v1, v0
	v_mov_b32_e32 v1, 0xf3
	v_lshrrev_b16 v0, 7, v0
	v_mul_u32_u24_sdwa v1, v132, v1 dst_sel:DWORD dst_unused:UNUSED_PAD src0_sel:WORD_0 src1_sel:DWORD
	v_mul_lo_u16 v0, 0xf3, v0
	s_waitcnt vmcnt(5) lgkmcnt(6)
	v_mul_f64 v[138:139], v[145:146], v[114:115]
	v_mul_f64 v[189:190], v[143:144], v[114:115]
	s_waitcnt vmcnt(4) lgkmcnt(5)
	v_mul_f64 v[191:192], v[149:150], v[110:111]
	v_mul_f64 v[193:194], v[147:148], v[110:111]
	;; [unrolled: 3-line block ×6, first 2 shown]
	v_fma_f64 v[138:139], v[143:144], v[112:113], -v[138:139]
	v_fma_f64 v[189:190], v[145:146], v[112:113], v[189:190]
	v_fma_f64 v[191:192], v[147:148], v[108:109], -v[191:192]
	v_fma_f64 v[193:194], v[149:150], v[108:109], v[193:194]
	;; [unrolled: 2-line block ×6, first 2 shown]
	ds_read_b128 v[144:147], v173
	ds_read_b128 v[148:151], v173 offset:3888
	v_sub_nc_u16 v143, v141, v0
	v_add_co_u32 v209, vcc_lo, 0x800, v2
	v_add_co_ci_u32_e32 v210, vcc_lo, 0, v3, vcc_lo
	v_lshlrev_b16 v0, 5, v143
	s_waitcnt lgkmcnt(0)
	s_barrier
	buffer_gl0_inv
	v_add_f64 v[197:198], v[138:139], v[191:192]
	v_add_f64 v[199:200], v[189:190], v[193:194]
	v_add_f64 v[215:216], v[189:190], -v[193:194]
	v_add_f64 v[217:218], v[138:139], -v[191:192]
	v_add_f64 v[201:202], v[195:196], v[154:155]
	v_add_f64 v[203:204], v[152:153], v[156:157]
	v_add_f64 v[221:222], v[152:153], -v[156:157]
	v_add_f64 v[223:224], v[167:168], v[158:159]
	v_add_f64 v[205:206], v[158:159], v[162:163]
	;; [unrolled: 1-line block ×7, first 2 shown]
	v_add_f64 v[225:226], v[160:161], -v[164:165]
	v_add_f64 v[219:220], v[148:149], v[195:196]
	v_add_f64 v[195:196], v[195:196], -v[154:155]
	v_add_lshl_u32 v190, v1, v135, 4
	v_mad_u16 v1, 0xf3, v133, v136
	v_and_b32_e32 v0, 0xffff, v0
	v_lshlrev_b32_sdwa v189, v140, v177 dst_sel:DWORD dst_unused:UNUSED_PAD src0_sel:DWORD src1_sel:WORD_0
	v_fma_f64 v[197:198], v[197:198], -0.5, v[144:145]
	v_fma_f64 v[160:161], v[199:200], -0.5, v[146:147]
	v_add_f64 v[199:200], v[158:159], -v[162:163]
	v_add_co_u32 v0, s12, s10, v0
	v_fma_f64 v[158:159], v[201:202], -0.5, v[148:149]
	v_fma_f64 v[201:202], v[203:204], -0.5, v[150:151]
	v_add_f64 v[144:145], v[223:224], v[162:163]
	v_fma_f64 v[166:167], v[205:206], -0.5, v[167:168]
	v_fma_f64 v[170:171], v[207:208], -0.5, v[169:170]
	v_add_f64 v[134:135], v[211:212], v[193:194]
	v_add_f64 v[132:133], v[213:214], v[191:192]
	;; [unrolled: 1-line block ×4, first 2 shown]
	v_add_co_u32 v203, vcc_lo, 0xf00, v2
	v_add_f64 v[136:137], v[219:220], v[154:155]
	v_lshlrev_b32_sdwa v191, v140, v1 dst_sel:DWORD dst_unused:UNUSED_PAD src0_sel:DWORD src1_sel:WORD_0
	v_add_co_ci_u32_e64 v1, null, s11, 0, s12
	v_add_co_ci_u32_e32 v204, vcc_lo, 0, v3, vcc_lo
	v_fma_f64 v[148:149], v[215:216], s[6:7], v[197:198]
	v_fma_f64 v[150:151], v[217:218], s[8:9], v[160:161]
	;; [unrolled: 1-line block ×4, first 2 shown]
	v_add_co_u32 v192, vcc_lo, 0x800, v0
	v_fma_f64 v[156:157], v[221:222], s[6:7], v[158:159]
	v_fma_f64 v[160:161], v[221:222], s[8:9], v[158:159]
	;; [unrolled: 1-line block ×8, first 2 shown]
	v_add_co_ci_u32_e32 v193, vcc_lo, 0, v1, vcc_lo
	ds_write_b128 v190, v[132:135]
	ds_write_b128 v190, v[148:151] offset:1296
	ds_write_b128 v190, v[152:155] offset:2592
	ds_write_b128 v191, v[136:139]
	ds_write_b128 v191, v[156:159] offset:1296
	ds_write_b128 v191, v[160:163] offset:2592
	;; [unrolled: 3-line block ×3, first 2 shown]
	v_add_co_u32 v144, vcc_lo, 0xf00, v0
	s_waitcnt lgkmcnt(0)
	s_barrier
	buffer_gl0_inv
	s_clause 0x1
	global_load_dwordx4 v[132:135], v[209:210], off offset:1792
	global_load_dwordx4 v[136:139], v[203:204], off offset:16
	v_add_co_ci_u32_e32 v145, vcc_lo, 0, v1, vcc_lo
	s_clause 0x1
	global_load_dwordx4 v[148:151], v[192:193], off offset:1792
	global_load_dwordx4 v[152:155], v[144:145], off offset:16
	ds_read_b128 v[144:147], v173 offset:11664
	ds_read_b128 v[156:159], v173 offset:23328
	ds_read_b128 v[160:163], v173 offset:15552
	ds_read_b128 v[164:167], v173 offset:27216
	ds_read_b128 v[168:171], v173 offset:19440
	ds_read_b128 v[192:195], v173 offset:31104
	ds_read_b128 v[196:199], v173 offset:7776
	v_lshlrev_b32_e32 v0, 5, v142
	v_lshlrev_b32_e32 v1, 5, v141
	v_add_co_u32 v0, s12, s10, v0
	v_add_co_u32 v1, s10, s10, v1
	s_waitcnt vmcnt(3) lgkmcnt(6)
	v_mul_f64 v[200:201], v[146:147], v[134:135]
	v_mul_f64 v[202:203], v[144:145], v[134:135]
	s_waitcnt vmcnt(2) lgkmcnt(5)
	v_mul_f64 v[204:205], v[158:159], v[138:139]
	v_mul_f64 v[206:207], v[156:157], v[138:139]
	s_waitcnt lgkmcnt(4)
	v_mul_f64 v[208:209], v[162:163], v[134:135]
	v_mul_f64 v[210:211], v[160:161], v[134:135]
	s_waitcnt lgkmcnt(3)
	v_mul_f64 v[212:213], v[166:167], v[138:139]
	v_mul_f64 v[214:215], v[164:165], v[138:139]
	s_waitcnt vmcnt(1) lgkmcnt(2)
	v_mul_f64 v[216:217], v[170:171], v[150:151]
	v_mul_f64 v[218:219], v[168:169], v[150:151]
	s_waitcnt vmcnt(0) lgkmcnt(1)
	v_mul_f64 v[220:221], v[194:195], v[154:155]
	v_mul_f64 v[222:223], v[192:193], v[154:155]
	v_fma_f64 v[200:201], v[144:145], v[132:133], -v[200:201]
	v_fma_f64 v[202:203], v[146:147], v[132:133], v[202:203]
	v_fma_f64 v[204:205], v[156:157], v[136:137], -v[204:205]
	v_fma_f64 v[206:207], v[158:159], v[136:137], v[206:207]
	v_fma_f64 v[160:161], v[160:161], v[132:133], -v[208:209]
	v_fma_f64 v[162:163], v[162:163], v[132:133], v[210:211]
	v_fma_f64 v[164:165], v[164:165], v[136:137], -v[212:213]
	v_fma_f64 v[166:167], v[166:167], v[136:137], v[214:215]
	v_fma_f64 v[168:169], v[168:169], v[148:149], -v[216:217]
	v_fma_f64 v[170:171], v[170:171], v[148:149], v[218:219]
	v_fma_f64 v[192:193], v[192:193], v[152:153], -v[220:221]
	v_fma_f64 v[194:195], v[194:195], v[152:153], v[222:223]
	ds_read_b128 v[144:147], v173
	ds_read_b128 v[156:159], v173 offset:3888
	v_add_co_u32 v218, vcc_lo, 0x2800, v2
	v_add_co_ci_u32_e32 v219, vcc_lo, 0, v3, vcc_lo
	v_add_co_u32 v236, vcc_lo, 0x2d60, v2
	v_add_co_ci_u32_e64 v2, null, s11, 0, s12
	v_add_co_ci_u32_e32 v237, vcc_lo, 0, v3, vcc_lo
	v_add_co_ci_u32_e64 v3, null, s11, 0, s10
	v_add_f64 v[208:209], v[200:201], v[204:205]
	v_add_f64 v[210:211], v[202:203], v[206:207]
	s_waitcnt lgkmcnt(0)
	v_add_f64 v[141:142], v[160:161], v[164:165]
	v_add_f64 v[212:213], v[162:163], v[166:167]
	v_add_f64 v[230:231], v[160:161], -v[164:165]
	v_add_f64 v[220:221], v[146:147], v[202:203]
	v_add_f64 v[214:215], v[168:169], v[192:193]
	v_add_f64 v[216:217], v[170:171], v[194:195]
	v_add_f64 v[222:223], v[144:145], v[200:201]
	v_add_f64 v[224:225], v[158:159], v[162:163]
	v_add_f64 v[226:227], v[156:157], v[160:161]
	v_add_f64 v[202:203], v[202:203], -v[206:207]
	v_add_f64 v[200:201], v[200:201], -v[204:205]
	v_add_f64 v[160:161], v[198:199], v[170:171]
	v_add_f64 v[234:235], v[170:171], -v[194:195]
	v_add_f64 v[228:229], v[162:163], -v[166:167]
	v_add_f64 v[232:233], v[196:197], v[168:169]
	s_barrier
	buffer_gl0_inv
	s_mul_hi_u32 s10, s0, 0x2d90
	v_fma_f64 v[208:209], v[208:209], -0.5, v[144:145]
	v_fma_f64 v[170:171], v[210:211], -0.5, v[146:147]
	v_add_f64 v[210:211], v[168:169], -v[192:193]
	v_fma_f64 v[141:142], v[141:142], -0.5, v[156:157]
	v_fma_f64 v[212:213], v[212:213], -0.5, v[158:159]
	v_add_f64 v[146:147], v[220:221], v[206:207]
	v_fma_f64 v[214:215], v[214:215], -0.5, v[196:197]
	v_fma_f64 v[216:217], v[216:217], -0.5, v[198:199]
	v_add_f64 v[144:145], v[222:223], v[204:205]
	v_add_f64 v[158:159], v[224:225], v[166:167]
	;; [unrolled: 1-line block ×5, first 2 shown]
	v_lshlrev_b32_sdwa v192, v140, v143 dst_sel:DWORD dst_unused:UNUSED_PAD src0_sel:DWORD src1_sel:WORD_0
	v_fma_f64 v[164:165], v[202:203], s[6:7], v[208:209]
	v_fma_f64 v[166:167], v[200:201], s[8:9], v[170:171]
	;; [unrolled: 1-line block ×12, first 2 shown]
	v_add_co_u32 v209, vcc_lo, 0x2800, v0
	v_add_co_ci_u32_e32 v210, vcc_lo, 0, v2, vcc_lo
	v_add_co_u32 v211, vcc_lo, 0x2d60, v0
	v_add_co_ci_u32_e32 v212, vcc_lo, 0, v2, vcc_lo
	ds_write_b128 v173, v[144:147]
	ds_write_b128 v173, v[156:159] offset:11664
	ds_write_b128 v173, v[164:167] offset:3888
	ds_write_b128 v173, v[168:171] offset:7776
	ds_write_b128 v173, v[193:196] offset:15552
	ds_write_b128 v173, v[197:200] offset:19440
	ds_write_b128 v192, v[160:163] offset:23328
	ds_write_b128 v192, v[201:204] offset:27216
	ds_write_b128 v192, v[205:208] offset:31104
	v_add_co_u32 v156, vcc_lo, 0x2800, v1
	v_add_co_ci_u32_e32 v157, vcc_lo, 0, v3, vcc_lo
	s_waitcnt lgkmcnt(0)
	s_barrier
	buffer_gl0_inv
	s_clause 0x1
	global_load_dwordx4 v[140:143], v[218:219], off offset:1376
	global_load_dwordx4 v[144:147], v[236:237], off offset:16
	v_add_co_u32 v160, vcc_lo, 0x2d60, v1
	v_add_co_ci_u32_e32 v161, vcc_lo, 0, v3, vcc_lo
	s_clause 0x3
	global_load_dwordx4 v[164:167], v[209:210], off offset:1376
	global_load_dwordx4 v[168:171], v[211:212], off offset:16
	;; [unrolled: 1-line block ×4, first 2 shown]
	ds_read_b128 v[193:196], v173 offset:11664
	ds_read_b128 v[197:200], v173 offset:23328
	;; [unrolled: 1-line block ×7, first 2 shown]
	s_waitcnt vmcnt(5) lgkmcnt(6)
	v_mul_f64 v[221:222], v[195:196], v[142:143]
	v_mul_f64 v[223:224], v[193:194], v[142:143]
	s_waitcnt vmcnt(4) lgkmcnt(5)
	v_mul_f64 v[225:226], v[199:200], v[146:147]
	v_mul_f64 v[227:228], v[197:198], v[146:147]
	s_waitcnt vmcnt(3) lgkmcnt(4)
	v_mul_f64 v[229:230], v[203:204], v[166:167]
	s_waitcnt vmcnt(2) lgkmcnt(3)
	v_mul_f64 v[231:232], v[207:208], v[170:171]
	v_mul_f64 v[233:234], v[201:202], v[166:167]
	;; [unrolled: 1-line block ×3, first 2 shown]
	s_waitcnt vmcnt(1) lgkmcnt(2)
	v_mul_f64 v[237:238], v[211:212], v[158:159]
	s_waitcnt vmcnt(0) lgkmcnt(1)
	v_mul_f64 v[239:240], v[215:216], v[162:163]
	v_mul_f64 v[241:242], v[209:210], v[158:159]
	;; [unrolled: 1-line block ×3, first 2 shown]
	v_fma_f64 v[221:222], v[193:194], v[140:141], -v[221:222]
	v_fma_f64 v[223:224], v[195:196], v[140:141], v[223:224]
	v_fma_f64 v[225:226], v[197:198], v[144:145], -v[225:226]
	v_fma_f64 v[227:228], v[199:200], v[144:145], v[227:228]
	v_fma_f64 v[201:202], v[201:202], v[164:165], -v[229:230]
	v_fma_f64 v[205:206], v[205:206], v[168:169], -v[231:232]
	v_fma_f64 v[203:204], v[203:204], v[164:165], v[233:234]
	v_fma_f64 v[207:208], v[207:208], v[168:169], v[235:236]
	v_fma_f64 v[209:210], v[209:210], v[156:157], -v[237:238]
	v_fma_f64 v[213:214], v[213:214], v[160:161], -v[239:240]
	v_fma_f64 v[211:212], v[211:212], v[156:157], v[241:242]
	v_fma_f64 v[215:216], v[215:216], v[160:161], v[243:244]
	ds_read_b128 v[193:196], v173
	ds_read_b128 v[197:200], v173 offset:3888
	v_add_f64 v[229:230], v[221:222], v[225:226]
	v_add_f64 v[231:232], v[223:224], v[227:228]
	;; [unrolled: 1-line block ×3, first 2 shown]
	v_add_f64 v[177:178], v[201:202], -v[205:206]
	v_add_f64 v[235:236], v[203:204], v[207:208]
	s_waitcnt lgkmcnt(2)
	v_add_f64 v[251:252], v[217:218], v[209:210]
	v_add_f64 v[237:238], v[209:210], v[213:214]
	s_waitcnt lgkmcnt(1)
	v_add_f64 v[241:242], v[195:196], v[223:224]
	v_add_f64 v[239:240], v[211:212], v[215:216]
	;; [unrolled: 1-line block ×3, first 2 shown]
	s_waitcnt lgkmcnt(0)
	v_add_f64 v[245:246], v[199:200], v[203:204]
	v_add_f64 v[247:248], v[197:198], v[201:202]
	;; [unrolled: 1-line block ×3, first 2 shown]
	v_add_f64 v[223:224], v[223:224], -v[227:228]
	v_add_f64 v[221:222], v[221:222], -v[225:226]
	;; [unrolled: 1-line block ×5, first 2 shown]
	v_fma_f64 v[229:230], v[229:230], -0.5, v[193:194]
	v_fma_f64 v[231:232], v[231:232], -0.5, v[195:196]
	;; [unrolled: 1-line block ×4, first 2 shown]
	v_add_f64 v[201:202], v[251:252], v[213:214]
	v_fma_f64 v[237:238], v[237:238], -0.5, v[217:218]
	v_add_f64 v[195:196], v[241:242], v[227:228]
	v_fma_f64 v[239:240], v[239:240], -0.5, v[219:220]
	v_add_f64 v[193:194], v[243:244], v[225:226]
	v_add_f64 v[199:200], v[245:246], v[207:208]
	;; [unrolled: 1-line block ×4, first 2 shown]
	v_fma_f64 v[205:206], v[223:224], s[6:7], v[229:230]
	v_fma_f64 v[207:208], v[221:222], s[8:9], v[231:232]
	;; [unrolled: 1-line block ×12, first 2 shown]
	v_add_co_u32 v0, vcc_lo, 0x8800, v175
	v_add_co_ci_u32_e32 v1, vcc_lo, 0, v176, vcc_lo
	ds_write_b128 v173, v[193:196]
	ds_write_b128 v173, v[197:200] offset:3888
	ds_write_b128 v173, v[201:204] offset:7776
	;; [unrolled: 1-line block ×8, first 2 shown]
	s_waitcnt lgkmcnt(0)
	s_barrier
	buffer_gl0_inv
	global_load_dwordx4 v[193:196], v[0:1], off offset:176
	v_add_co_u32 v0, vcc_lo, 0xb000, v175
	v_add_co_ci_u32_e32 v1, vcc_lo, 0, v176, vcc_lo
	global_load_dwordx4 v[197:200], v[0:1], off offset:1600
	v_add_co_u32 v0, vcc_lo, 0xe000, v175
	v_add_co_ci_u32_e32 v1, vcc_lo, 0, v176, vcc_lo
	;; [unrolled: 3-line block ×7, first 2 shown]
	v_add_co_u32 v2, vcc_lo, 0x10000, v175
	v_add_co_ci_u32_e32 v3, vcc_lo, 0, v176, vcc_lo
	s_clause 0x1
	global_load_dwordx4 v[221:224], v[0:1], off offset:1184
	global_load_dwordx4 v[225:228], v[2:3], off offset:560
	ds_read_b128 v[229:232], v173
	ds_read_b128 v[233:236], v173 offset:3888
	ds_read_b128 v[237:240], v173 offset:11664
	;; [unrolled: 1-line block ×3, first 2 shown]
	s_waitcnt vmcnt(8) lgkmcnt(3)
	v_mul_f64 v[0:1], v[231:232], v[195:196]
	v_mul_f64 v[2:3], v[229:230], v[195:196]
	s_waitcnt vmcnt(7) lgkmcnt(1)
	v_mul_f64 v[175:176], v[239:240], v[199:200]
	v_fma_f64 v[229:230], v[229:230], v[193:194], -v[0:1]
	v_mul_f64 v[0:1], v[237:238], v[199:200]
	v_fma_f64 v[231:232], v[231:232], v[193:194], v[2:3]
	ds_read_b128 v[193:196], v173 offset:23328
	v_fma_f64 v[237:238], v[237:238], v[197:198], -v[175:176]
	s_waitcnt vmcnt(5)
	v_mul_f64 v[175:176], v[235:236], v[207:208]
	v_fma_f64 v[239:240], v[239:240], v[197:198], v[0:1]
	ds_read_b128 v[197:200], v173 offset:27216
	s_waitcnt lgkmcnt(1)
	v_mul_f64 v[0:1], v[195:196], v[203:204]
	v_mul_f64 v[2:3], v[193:194], v[203:204]
	v_fma_f64 v[193:194], v[193:194], v[201:202], -v[0:1]
	v_mul_f64 v[0:1], v[233:234], v[207:208]
	v_fma_f64 v[195:196], v[195:196], v[201:202], v[2:3]
	ds_read_b128 v[201:204], v173 offset:15552
	v_fma_f64 v[233:234], v[233:234], v[205:206], -v[175:176]
	s_waitcnt vmcnt(3) lgkmcnt(1)
	v_mul_f64 v[175:176], v[199:200], v[215:216]
	v_fma_f64 v[235:236], v[235:236], v[205:206], v[0:1]
	ds_read_b128 v[205:208], v173 offset:19440
	s_waitcnt lgkmcnt(1)
	v_mul_f64 v[0:1], v[203:204], v[211:212]
	v_mul_f64 v[2:3], v[201:202], v[211:212]
	s_waitcnt vmcnt(1) lgkmcnt(0)
	v_mul_f64 v[177:178], v[205:206], v[223:224]
	v_fma_f64 v[201:202], v[201:202], v[209:210], -v[0:1]
	v_mul_f64 v[0:1], v[197:198], v[215:216]
	v_fma_f64 v[203:204], v[203:204], v[209:210], v[2:3]
	ds_read_b128 v[209:212], v173 offset:31104
	v_mul_f64 v[2:3], v[243:244], v[219:220]
	v_fma_f64 v[197:198], v[197:198], v[213:214], -v[175:176]
	v_mul_f64 v[175:176], v[207:208], v[223:224]
	v_fma_f64 v[207:208], v[207:208], v[221:222], v[177:178]
	v_fma_f64 v[199:200], v[199:200], v[213:214], v[0:1]
	v_mul_f64 v[0:1], v[241:242], v[219:220]
	s_waitcnt vmcnt(0) lgkmcnt(0)
	v_mul_f64 v[219:220], v[211:212], v[227:228]
	v_fma_f64 v[213:214], v[241:242], v[217:218], -v[2:3]
	v_fma_f64 v[205:206], v[205:206], v[221:222], -v[175:176]
	v_fma_f64 v[215:216], v[243:244], v[217:218], v[0:1]
	v_mul_f64 v[0:1], v[209:210], v[227:228]
	v_fma_f64 v[209:210], v[209:210], v[225:226], -v[219:220]
	v_fma_f64 v[211:212], v[211:212], v[225:226], v[0:1]
	ds_write_b128 v173, v[229:232]
	ds_write_b128 v173, v[237:240] offset:11664
	ds_write_b128 v173, v[193:196] offset:23328
	;; [unrolled: 1-line block ×8, first 2 shown]
	s_waitcnt lgkmcnt(0)
	s_barrier
	buffer_gl0_inv
	ds_read_b128 v[193:196], v173 offset:11664
	ds_read_b128 v[197:200], v173 offset:23328
	;; [unrolled: 1-line block ×6, first 2 shown]
	ds_read_b128 v[217:220], v173
	ds_read_b128 v[221:224], v173 offset:3888
	ds_read_b128 v[225:228], v173 offset:7776
	s_waitcnt lgkmcnt(0)
	s_barrier
	buffer_gl0_inv
	v_add_f64 v[0:1], v[193:194], v[197:198]
	v_add_f64 v[2:3], v[195:196], v[199:200]
	v_add_f64 v[237:238], v[195:196], -v[199:200]
	v_add_f64 v[175:176], v[205:206], v[201:202]
	v_add_f64 v[229:230], v[209:210], v[213:214]
	;; [unrolled: 1-line block ×7, first 2 shown]
	v_add_f64 v[239:240], v[193:194], -v[197:198]
	v_add_f64 v[243:244], v[223:224], v[207:208]
	v_add_f64 v[247:248], v[227:228], v[211:212]
	;; [unrolled: 1-line block ×3, first 2 shown]
	v_fma_f64 v[0:1], v[0:1], -0.5, v[217:218]
	v_fma_f64 v[2:3], v[2:3], -0.5, v[219:220]
	v_add_f64 v[219:220], v[205:206], -v[201:202]
	v_add_f64 v[217:218], v[207:208], -v[203:204]
	v_fma_f64 v[225:226], v[229:230], -0.5, v[225:226]
	v_add_f64 v[229:230], v[209:210], -v[213:214]
	v_fma_f64 v[175:176], v[175:176], -0.5, v[221:222]
	v_add_f64 v[195:196], v[235:236], v[199:200]
	v_fma_f64 v[177:178], v[177:178], -0.5, v[223:224]
	v_add_f64 v[193:194], v[233:234], v[197:198]
	v_add_f64 v[223:224], v[211:212], -v[215:216]
	v_add_f64 v[197:198], v[241:242], v[201:202]
	v_add_f64 v[199:200], v[243:244], v[203:204]
	v_add_f64 v[201:202], v[245:246], v[213:214]
	v_add_f64 v[203:204], v[247:248], v[215:216]
	v_fma_f64 v[227:228], v[231:232], -0.5, v[227:228]
	v_fma_f64 v[205:206], v[237:238], s[8:9], v[0:1]
	v_fma_f64 v[209:210], v[237:238], s[6:7], v[0:1]
	buffer_load_dword v0, off, s[20:23], 0 offset:12 ; 4-byte Folded Reload
	v_fma_f64 v[207:208], v[239:240], s[6:7], v[2:3]
	v_fma_f64 v[211:212], v[239:240], s[8:9], v[2:3]
	;; [unrolled: 1-line block ×8, first 2 shown]
	s_waitcnt vmcnt(0)
	ds_write_b128 v0, v[193:196]
	ds_write_b128 v0, v[205:208] offset:16
	ds_write_b128 v0, v[209:212] offset:32
	ds_write_b128 v174, v[197:200]
	ds_write_b128 v174, v[213:216] offset:16
	ds_write_b128 v174, v[217:220] offset:32
	buffer_load_dword v0, off, s[20:23], 0 offset:8 ; 4-byte Folded Reload
	v_fma_f64 v[223:224], v[229:230], s[6:7], v[227:228]
	v_fma_f64 v[227:228], v[229:230], s[8:9], v[227:228]
	s_waitcnt vmcnt(0)
	ds_write_b128 v0, v[201:204]
	ds_write_b128 v0, v[221:224] offset:16
	ds_write_b128 v0, v[225:228] offset:32
	s_waitcnt lgkmcnt(0)
	s_barrier
	buffer_gl0_inv
	ds_read_b128 v[175:178], v173 offset:11664
	ds_read_b128 v[193:196], v173 offset:23328
	;; [unrolled: 1-line block ×7, first 2 shown]
	s_waitcnt lgkmcnt(6)
	v_mul_f64 v[0:1], v[50:51], v[177:178]
	s_waitcnt lgkmcnt(5)
	v_mul_f64 v[2:3], v[46:47], v[195:196]
	v_mul_f64 v[50:51], v[50:51], v[175:176]
	v_mul_f64 v[46:47], v[46:47], v[193:194]
	s_waitcnt lgkmcnt(4)
	v_mul_f64 v[217:218], v[42:43], v[199:200]
	s_waitcnt lgkmcnt(3)
	v_mul_f64 v[219:220], v[38:39], v[203:204]
	v_mul_f64 v[42:43], v[42:43], v[197:198]
	v_mul_f64 v[38:39], v[38:39], v[201:202]
	;; [unrolled: 6-line block ×3, first 2 shown]
	v_fma_f64 v[0:1], v[48:49], v[175:176], v[0:1]
	v_fma_f64 v[2:3], v[44:45], v[193:194], v[2:3]
	v_fma_f64 v[48:49], v[48:49], v[177:178], -v[50:51]
	v_fma_f64 v[44:45], v[44:45], v[195:196], -v[46:47]
	v_fma_f64 v[46:47], v[40:41], v[197:198], v[217:218]
	v_fma_f64 v[50:51], v[36:37], v[201:202], v[219:220]
	v_fma_f64 v[174:175], v[40:41], v[199:200], -v[42:43]
	v_fma_f64 v[176:177], v[36:37], v[203:204], -v[38:39]
	;; [unrolled: 4-line block ×3, first 2 shown]
	ds_read_b128 v[36:39], v173
	ds_read_b128 v[40:43], v173 offset:3888
	s_waitcnt lgkmcnt(0)
	s_barrier
	buffer_gl0_inv
	v_add_f64 v[54:55], v[0:1], v[2:3]
	v_add_f64 v[58:59], v[48:49], v[44:45]
	v_add_f64 v[209:210], v[48:49], -v[44:45]
	v_add_f64 v[197:198], v[46:47], v[50:51]
	v_add_f64 v[221:222], v[46:47], -v[50:51]
	v_add_f64 v[199:200], v[174:175], v[176:177]
	v_add_f64 v[219:220], v[213:214], v[193:194]
	;; [unrolled: 1-line block ×6, first 2 shown]
	v_add_f64 v[0:1], v[0:1], -v[2:3]
	v_add_f64 v[217:218], v[215:216], v[56:57]
	v_add_f64 v[174:175], v[174:175], -v[176:177]
	v_add_f64 v[203:204], v[56:57], v[52:53]
	;; [unrolled: 2-line block ×3, first 2 shown]
	v_fma_f64 v[54:55], v[54:55], -0.5, v[36:37]
	v_fma_f64 v[58:59], v[58:59], -0.5, v[38:39]
	;; [unrolled: 1-line block ×4, first 2 shown]
	v_add_f64 v[38:39], v[205:206], v[44:45]
	v_add_f64 v[36:37], v[207:208], v[2:3]
	v_add_f64 v[42:43], v[48:49], v[176:177]
	v_add_f64 v[40:41], v[211:212], v[50:51]
	v_add_f64 v[44:45], v[219:220], v[195:196]
	v_add_f64 v[46:47], v[217:218], v[52:53]
	v_fma_f64 v[203:204], v[203:204], -0.5, v[215:216]
	v_fma_f64 v[201:202], v[201:202], -0.5, v[213:214]
	v_add_f64 v[213:214], v[193:194], -v[195:196]
	v_fma_f64 v[48:49], v[209:210], s[8:9], v[54:55]
	v_fma_f64 v[52:53], v[209:210], s[6:7], v[54:55]
	;; [unrolled: 1-line block ×8, first 2 shown]
	ds_write_b128 v172, v[36:39]
	ds_write_b128 v172, v[48:51] offset:48
	ds_write_b128 v172, v[52:55] offset:96
	ds_write_b128 v255, v[40:43]
	ds_write_b128 v255, v[56:59] offset:48
	ds_write_b128 v255, v[175:178] offset:96
	buffer_load_dword v0, off, s[20:23], 0 offset:20 ; 4-byte Folded Reload
	v_fma_f64 v[193:194], v[223:224], s[8:9], v[201:202]
	v_fma_f64 v[195:196], v[213:214], s[6:7], v[203:204]
	;; [unrolled: 1-line block ×4, first 2 shown]
	s_waitcnt vmcnt(0)
	ds_write_b128 v0, v[44:47]
	ds_write_b128 v0, v[193:196] offset:48
	ds_write_b128 v0, v[197:200] offset:96
	s_waitcnt lgkmcnt(0)
	s_barrier
	buffer_gl0_inv
	ds_read_b128 v[36:39], v173 offset:11664
	ds_read_b128 v[40:43], v173 offset:23328
	;; [unrolled: 1-line block ×7, first 2 shown]
	s_waitcnt lgkmcnt(6)
	v_mul_f64 v[0:1], v[66:67], v[38:39]
	s_waitcnt lgkmcnt(5)
	v_mul_f64 v[2:3], v[62:63], v[42:43]
	v_mul_f64 v[66:67], v[66:67], v[36:37]
	v_mul_f64 v[62:63], v[62:63], v[40:41]
	s_waitcnt lgkmcnt(4)
	v_mul_f64 v[193:194], v[74:75], v[46:47]
	s_waitcnt lgkmcnt(3)
	v_mul_f64 v[195:196], v[70:71], v[50:51]
	v_mul_f64 v[74:75], v[74:75], v[44:45]
	v_mul_f64 v[70:71], v[70:71], v[48:49]
	;; [unrolled: 6-line block ×3, first 2 shown]
	v_fma_f64 v[0:1], v[64:65], v[36:37], v[0:1]
	v_fma_f64 v[2:3], v[60:61], v[40:41], v[2:3]
	v_fma_f64 v[64:65], v[64:65], v[38:39], -v[66:67]
	v_fma_f64 v[60:61], v[60:61], v[42:43], -v[62:63]
	v_fma_f64 v[44:45], v[72:73], v[44:45], v[193:194]
	v_fma_f64 v[48:49], v[68:69], v[48:49], v[195:196]
	v_fma_f64 v[46:47], v[72:73], v[46:47], -v[74:75]
	v_fma_f64 v[50:51], v[68:69], v[50:51], -v[70:71]
	;; [unrolled: 4-line block ×3, first 2 shown]
	ds_read_b128 v[36:39], v173
	ds_read_b128 v[40:43], v173 offset:3888
	s_waitcnt lgkmcnt(0)
	s_barrier
	buffer_gl0_inv
	v_add_f64 v[62:63], v[0:1], v[2:3]
	v_add_f64 v[66:67], v[64:65], v[60:61]
	;; [unrolled: 1-line block ×3, first 2 shown]
	v_add_f64 v[199:200], v[44:45], -v[48:49]
	v_add_f64 v[70:71], v[46:47], v[50:51]
	v_add_f64 v[195:196], v[175:176], v[52:53]
	;; [unrolled: 1-line block ×8, first 2 shown]
	v_add_f64 v[64:65], v[64:65], -v[60:61]
	v_add_f64 v[0:1], v[0:1], -v[2:3]
	v_add_f64 v[193:194], v[177:178], v[54:55]
	v_add_f64 v[197:198], v[46:47], -v[50:51]
	v_add_f64 v[201:202], v[54:55], -v[58:59]
	v_fma_f64 v[62:63], v[62:63], -0.5, v[36:37]
	v_fma_f64 v[66:67], v[66:67], -0.5, v[38:39]
	;; [unrolled: 1-line block ×4, first 2 shown]
	v_add_f64 v[44:45], v[195:196], v[56:57]
	v_fma_f64 v[72:73], v[72:73], -0.5, v[175:176]
	v_add_f64 v[174:175], v[52:53], -v[56:57]
	v_fma_f64 v[74:75], v[74:75], -0.5, v[177:178]
	v_add_f64 v[38:39], v[76:77], v[60:61]
	v_add_f64 v[36:37], v[78:79], v[2:3]
	;; [unrolled: 1-line block ×5, first 2 shown]
	v_fma_f64 v[48:49], v[64:65], s[8:9], v[62:63]
	v_fma_f64 v[52:53], v[64:65], s[6:7], v[62:63]
	;; [unrolled: 1-line block ×12, first 2 shown]
	ds_write_b128 v183, v[36:39]
	ds_write_b128 v183, v[48:51] offset:144
	ds_write_b128 v183, v[52:55] offset:288
	ds_write_b128 v185, v[40:43]
	ds_write_b128 v185, v[56:59] offset:144
	ds_write_b128 v185, v[60:63] offset:288
	;; [unrolled: 3-line block ×3, first 2 shown]
	s_waitcnt lgkmcnt(0)
	s_barrier
	buffer_gl0_inv
	ds_read_b128 v[36:39], v173 offset:11664
	ds_read_b128 v[40:43], v173 offset:23328
	;; [unrolled: 1-line block ×7, first 2 shown]
	s_waitcnt lgkmcnt(6)
	v_mul_f64 v[0:1], v[90:91], v[38:39]
	s_waitcnt lgkmcnt(5)
	v_mul_f64 v[2:3], v[86:87], v[42:43]
	v_mul_f64 v[64:65], v[90:91], v[36:37]
	v_mul_f64 v[66:67], v[86:87], v[40:41]
	s_waitcnt lgkmcnt(4)
	v_mul_f64 v[68:69], v[98:99], v[46:47]
	s_waitcnt lgkmcnt(3)
	v_mul_f64 v[70:71], v[94:95], v[50:51]
	v_mul_f64 v[72:73], v[98:99], v[44:45]
	v_mul_f64 v[74:75], v[94:95], v[48:49]
	s_waitcnt lgkmcnt(2)
	v_mul_f64 v[76:77], v[102:103], v[54:55]
	s_waitcnt lgkmcnt(1)
	v_mul_f64 v[78:79], v[106:107], v[58:59]
	v_mul_f64 v[80:81], v[102:103], v[52:53]
	v_mul_f64 v[82:83], v[106:107], v[56:57]
	v_fma_f64 v[0:1], v[88:89], v[36:37], v[0:1]
	v_fma_f64 v[2:3], v[84:85], v[40:41], v[2:3]
	v_fma_f64 v[64:65], v[88:89], v[38:39], -v[64:65]
	v_fma_f64 v[66:67], v[84:85], v[42:43], -v[66:67]
	v_fma_f64 v[44:45], v[96:97], v[44:45], v[68:69]
	v_fma_f64 v[48:49], v[92:93], v[48:49], v[70:71]
	v_fma_f64 v[46:47], v[96:97], v[46:47], -v[72:73]
	v_fma_f64 v[50:51], v[92:93], v[50:51], -v[74:75]
	;; [unrolled: 4-line block ×3, first 2 shown]
	ds_read_b128 v[36:39], v173
	ds_read_b128 v[40:43], v173 offset:3888
	s_waitcnt lgkmcnt(0)
	s_barrier
	buffer_gl0_inv
	v_add_f64 v[68:69], v[0:1], v[2:3]
	v_add_f64 v[70:71], v[64:65], v[66:67]
	;; [unrolled: 1-line block ×3, first 2 shown]
	v_add_f64 v[94:95], v[44:45], -v[48:49]
	v_add_f64 v[74:75], v[46:47], v[50:51]
	v_add_f64 v[88:89], v[60:61], v[52:53]
	;; [unrolled: 1-line block ×8, first 2 shown]
	v_add_f64 v[64:65], v[64:65], -v[66:67]
	v_add_f64 v[0:1], v[0:1], -v[2:3]
	v_add_f64 v[90:91], v[62:63], v[54:55]
	v_add_f64 v[92:93], v[46:47], -v[50:51]
	v_add_f64 v[96:97], v[54:55], -v[58:59]
	;; [unrolled: 1-line block ×3, first 2 shown]
	v_fma_f64 v[68:69], v[68:69], -0.5, v[36:37]
	v_fma_f64 v[70:71], v[70:71], -0.5, v[38:39]
	v_fma_f64 v[72:73], v[72:73], -0.5, v[40:41]
	v_fma_f64 v[74:75], v[74:75], -0.5, v[42:43]
	v_add_f64 v[44:45], v[88:89], v[56:57]
	v_fma_f64 v[76:77], v[76:77], -0.5, v[60:61]
	v_add_f64 v[36:37], v[80:81], v[2:3]
	v_fma_f64 v[78:79], v[78:79], -0.5, v[62:63]
	v_add_f64 v[38:39], v[82:83], v[66:67]
	v_add_f64 v[40:41], v[84:85], v[48:49]
	;; [unrolled: 1-line block ×4, first 2 shown]
	v_fma_f64 v[48:49], v[64:65], s[8:9], v[68:69]
	v_fma_f64 v[52:53], v[64:65], s[6:7], v[68:69]
	;; [unrolled: 1-line block ×12, first 2 shown]
	ds_write_b128 v187, v[36:39]
	ds_write_b128 v187, v[48:51] offset:432
	ds_write_b128 v187, v[52:55] offset:864
	ds_write_b128 v188, v[40:43]
	ds_write_b128 v188, v[56:59] offset:432
	ds_write_b128 v188, v[60:63] offset:864
	;; [unrolled: 3-line block ×3, first 2 shown]
	s_waitcnt lgkmcnt(0)
	s_barrier
	buffer_gl0_inv
	ds_read_b128 v[36:39], v173 offset:11664
	ds_read_b128 v[40:43], v173 offset:23328
	;; [unrolled: 1-line block ×7, first 2 shown]
	s_waitcnt lgkmcnt(6)
	v_mul_f64 v[0:1], v[114:115], v[38:39]
	s_waitcnt lgkmcnt(5)
	v_mul_f64 v[2:3], v[110:111], v[42:43]
	v_mul_f64 v[64:65], v[114:115], v[36:37]
	v_mul_f64 v[66:67], v[110:111], v[40:41]
	s_waitcnt lgkmcnt(4)
	v_mul_f64 v[68:69], v[122:123], v[46:47]
	s_waitcnt lgkmcnt(3)
	v_mul_f64 v[70:71], v[118:119], v[50:51]
	v_mul_f64 v[72:73], v[122:123], v[44:45]
	v_mul_f64 v[74:75], v[118:119], v[48:49]
	;; [unrolled: 6-line block ×3, first 2 shown]
	v_fma_f64 v[0:1], v[112:113], v[36:37], v[0:1]
	v_fma_f64 v[2:3], v[108:109], v[40:41], v[2:3]
	v_fma_f64 v[64:65], v[112:113], v[38:39], -v[64:65]
	v_fma_f64 v[66:67], v[108:109], v[42:43], -v[66:67]
	v_fma_f64 v[44:45], v[120:121], v[44:45], v[68:69]
	v_fma_f64 v[48:49], v[116:117], v[48:49], v[70:71]
	v_fma_f64 v[46:47], v[120:121], v[46:47], -v[72:73]
	v_fma_f64 v[50:51], v[116:117], v[50:51], -v[74:75]
	;; [unrolled: 4-line block ×3, first 2 shown]
	ds_read_b128 v[36:39], v173
	ds_read_b128 v[40:43], v173 offset:3888
	s_waitcnt lgkmcnt(0)
	s_barrier
	buffer_gl0_inv
	v_add_f64 v[68:69], v[0:1], v[2:3]
	v_add_f64 v[70:71], v[64:65], v[66:67]
	v_add_f64 v[82:83], v[64:65], -v[66:67]
	v_add_f64 v[72:73], v[44:45], v[48:49]
	v_add_f64 v[94:95], v[44:45], -v[48:49]
	v_add_f64 v[74:75], v[46:47], v[50:51]
	v_add_f64 v[88:89], v[60:61], v[52:53]
	;; [unrolled: 1-line block ×8, first 2 shown]
	v_add_f64 v[0:1], v[0:1], -v[2:3]
	v_add_f64 v[90:91], v[62:63], v[54:55]
	v_add_f64 v[92:93], v[46:47], -v[50:51]
	v_add_f64 v[96:97], v[54:55], -v[58:59]
	;; [unrolled: 1-line block ×3, first 2 shown]
	v_fma_f64 v[68:69], v[68:69], -0.5, v[36:37]
	v_fma_f64 v[70:71], v[70:71], -0.5, v[38:39]
	;; [unrolled: 1-line block ×4, first 2 shown]
	v_add_f64 v[44:45], v[88:89], v[56:57]
	v_fma_f64 v[76:77], v[76:77], -0.5, v[60:61]
	v_add_f64 v[36:37], v[80:81], v[2:3]
	v_fma_f64 v[78:79], v[78:79], -0.5, v[62:63]
	v_add_f64 v[38:39], v[64:65], v[66:67]
	v_add_f64 v[40:41], v[84:85], v[48:49]
	;; [unrolled: 1-line block ×4, first 2 shown]
	v_fma_f64 v[48:49], v[82:83], s[8:9], v[68:69]
	v_fma_f64 v[52:53], v[82:83], s[6:7], v[68:69]
	;; [unrolled: 1-line block ×12, first 2 shown]
	ds_write_b128 v190, v[36:39]
	ds_write_b128 v190, v[48:51] offset:1296
	ds_write_b128 v190, v[52:55] offset:2592
	ds_write_b128 v191, v[40:43]
	ds_write_b128 v191, v[56:59] offset:1296
	ds_write_b128 v191, v[60:63] offset:2592
	;; [unrolled: 3-line block ×3, first 2 shown]
	s_waitcnt lgkmcnt(0)
	s_barrier
	buffer_gl0_inv
	ds_read_b128 v[36:39], v173 offset:11664
	ds_read_b128 v[40:43], v173 offset:23328
	;; [unrolled: 1-line block ×7, first 2 shown]
	s_waitcnt lgkmcnt(6)
	v_mul_f64 v[0:1], v[134:135], v[38:39]
	s_waitcnt lgkmcnt(5)
	v_mul_f64 v[2:3], v[138:139], v[42:43]
	v_mul_f64 v[64:65], v[134:135], v[36:37]
	v_mul_f64 v[66:67], v[138:139], v[40:41]
	s_waitcnt lgkmcnt(4)
	v_mul_f64 v[68:69], v[134:135], v[46:47]
	s_waitcnt lgkmcnt(3)
	v_mul_f64 v[70:71], v[138:139], v[50:51]
	v_mul_f64 v[72:73], v[134:135], v[44:45]
	v_mul_f64 v[74:75], v[138:139], v[48:49]
	;; [unrolled: 6-line block ×3, first 2 shown]
	v_fma_f64 v[0:1], v[132:133], v[36:37], v[0:1]
	v_fma_f64 v[2:3], v[136:137], v[40:41], v[2:3]
	v_fma_f64 v[64:65], v[132:133], v[38:39], -v[64:65]
	v_fma_f64 v[66:67], v[136:137], v[42:43], -v[66:67]
	v_fma_f64 v[44:45], v[132:133], v[44:45], v[68:69]
	v_fma_f64 v[48:49], v[136:137], v[48:49], v[70:71]
	v_fma_f64 v[46:47], v[132:133], v[46:47], -v[72:73]
	v_fma_f64 v[50:51], v[136:137], v[50:51], -v[74:75]
	;; [unrolled: 4-line block ×3, first 2 shown]
	ds_read_b128 v[36:39], v173
	ds_read_b128 v[40:43], v173 offset:3888
	s_waitcnt lgkmcnt(0)
	s_barrier
	buffer_gl0_inv
	v_add_f64 v[68:69], v[0:1], v[2:3]
	v_add_f64 v[70:71], v[64:65], v[66:67]
	v_add_f64 v[82:83], v[64:65], -v[66:67]
	v_add_f64 v[72:73], v[44:45], v[48:49]
	v_add_f64 v[94:95], v[44:45], -v[48:49]
	v_add_f64 v[74:75], v[46:47], v[50:51]
	v_add_f64 v[88:89], v[60:61], v[52:53]
	;; [unrolled: 1-line block ×8, first 2 shown]
	v_add_f64 v[0:1], v[0:1], -v[2:3]
	v_add_f64 v[90:91], v[62:63], v[54:55]
	v_add_f64 v[92:93], v[46:47], -v[50:51]
	v_add_f64 v[96:97], v[54:55], -v[58:59]
	;; [unrolled: 1-line block ×3, first 2 shown]
	v_fma_f64 v[68:69], v[68:69], -0.5, v[36:37]
	v_fma_f64 v[70:71], v[70:71], -0.5, v[38:39]
	v_fma_f64 v[72:73], v[72:73], -0.5, v[40:41]
	v_fma_f64 v[74:75], v[74:75], -0.5, v[42:43]
	v_add_f64 v[44:45], v[88:89], v[56:57]
	v_fma_f64 v[76:77], v[76:77], -0.5, v[60:61]
	v_add_f64 v[36:37], v[80:81], v[2:3]
	v_fma_f64 v[78:79], v[78:79], -0.5, v[62:63]
	v_add_f64 v[38:39], v[64:65], v[66:67]
	v_add_f64 v[40:41], v[84:85], v[48:49]
	;; [unrolled: 1-line block ×4, first 2 shown]
	v_fma_f64 v[48:49], v[82:83], s[8:9], v[68:69]
	v_fma_f64 v[52:53], v[82:83], s[6:7], v[68:69]
	;; [unrolled: 1-line block ×12, first 2 shown]
	ds_write_b128 v173, v[36:39]
	ds_write_b128 v173, v[40:43] offset:11664
	ds_write_b128 v173, v[48:51] offset:3888
	;; [unrolled: 1-line block ×8, first 2 shown]
	s_waitcnt lgkmcnt(0)
	s_barrier
	buffer_gl0_inv
	ds_read_b128 v[36:39], v173 offset:11664
	ds_read_b128 v[40:43], v173 offset:23328
	;; [unrolled: 1-line block ×7, first 2 shown]
	s_clause 0x1
	buffer_load_dword v86, off, s[20:23], 0
	buffer_load_dword v87, off, s[20:23], 0 offset:4
	s_waitcnt lgkmcnt(6)
	v_mul_f64 v[0:1], v[142:143], v[38:39]
	s_waitcnt lgkmcnt(5)
	v_mul_f64 v[2:3], v[146:147], v[42:43]
	;; [unrolled: 2-line block ×4, first 2 shown]
	v_mul_f64 v[64:65], v[142:143], v[36:37]
	s_waitcnt lgkmcnt(1)
	v_mul_f64 v[78:79], v[162:163], v[58:59]
	v_mul_f64 v[82:83], v[162:163], v[56:57]
	v_mul_f64 v[66:67], v[146:147], v[40:41]
	v_mul_f64 v[68:69], v[166:167], v[46:47]
	v_mul_f64 v[74:75], v[170:171], v[48:49]
	v_mul_f64 v[76:77], v[158:159], v[54:55]
	v_mul_f64 v[80:81], v[158:159], v[52:53]
	v_fma_f64 v[0:1], v[140:141], v[36:37], v[0:1]
	v_fma_f64 v[2:3], v[144:145], v[40:41], v[2:3]
	v_fma_f64 v[46:47], v[164:165], v[46:47], -v[72:73]
	v_fma_f64 v[48:49], v[168:169], v[48:49], v[70:71]
	v_fma_f64 v[64:65], v[140:141], v[38:39], -v[64:65]
	v_fma_f64 v[56:57], v[160:161], v[56:57], v[78:79]
	buffer_load_dword v78, off, s[20:23], 0 offset:16 ; 4-byte Folded Reload
	v_fma_f64 v[66:67], v[144:145], v[42:43], -v[66:67]
	v_fma_f64 v[44:45], v[164:165], v[44:45], v[68:69]
	v_fma_f64 v[50:51], v[168:169], v[50:51], -v[74:75]
	v_fma_f64 v[52:53], v[156:157], v[52:53], v[76:77]
	v_fma_f64 v[54:55], v[156:157], v[54:55], -v[80:81]
	v_fma_f64 v[58:59], v[160:161], v[58:59], -v[82:83]
	ds_read_b128 v[36:39], v173
	ds_read_b128 v[40:43], v173 offset:3888
	v_add_f64 v[71:72], v[0:1], v[2:3]
	v_add_f64 v[88:89], v[64:65], -v[66:67]
	v_add_f64 v[76:77], v[44:45], v[48:49]
	v_add_f64 v[98:99], v[44:45], -v[48:49]
	v_add_f64 v[80:81], v[52:53], v[56:57]
	s_waitcnt lgkmcnt(2)
	v_add_f64 v[94:95], v[60:61], v[52:53]
	v_add_f64 v[82:83], v[54:55], v[58:59]
	s_waitcnt lgkmcnt(0)
	v_add_f64 v[90:91], v[40:41], v[44:45]
	v_add_f64 v[92:93], v[42:43], v[46:47]
	;; [unrolled: 1-line block ×3, first 2 shown]
	v_add_f64 v[100:101], v[54:55], -v[58:59]
	v_add_f64 v[102:103], v[52:53], -v[56:57]
	v_fma_f64 v[76:77], v[76:77], -0.5, v[40:41]
	v_fma_f64 v[80:81], v[80:81], -0.5, v[60:61]
	v_add_f64 v[44:45], v[94:95], v[56:57]
	v_fma_f64 v[82:83], v[82:83], -0.5, v[62:63]
	v_add_f64 v[40:41], v[90:91], v[48:49]
	s_waitcnt vmcnt(2)
	v_mad_u64_u32 v[84:85], null, s2, v86, 0
	s_mul_i32 s2, s0, 0x2d90
	v_mov_b32_e32 v70, v85
	v_mad_u64_u32 v[73:74], null, s3, v86, v[70:71]
	v_add_f64 v[74:75], v[64:65], v[66:67]
	s_waitcnt vmcnt(1)
	v_add_f64 v[86:87], v[36:37], v[0:1]
	v_add_f64 v[64:65], v[38:39], v[64:65]
	v_add_f64 v[0:1], v[0:1], -v[2:3]
	s_mul_i32 s3, s1, 0x2d90
	v_mov_b32_e32 v85, v73
	s_add_i32 s3, s10, s3
	v_lshlrev_b64 v[84:85], 4, v[84:85]
	v_add_co_u32 v84, vcc_lo, s4, v84
	v_add_co_ci_u32_e32 v85, vcc_lo, s5, v85, vcc_lo
	s_mov_b32 s4, 0x80feb65f
	s_mov_b32 s5, 0x3f3df756
	s_waitcnt vmcnt(0)
	v_mad_u64_u32 v[68:69], null, s0, v78, 0
	v_mad_u64_u32 v[69:70], null, s1, v78, v[69:70]
	v_add_f64 v[78:79], v[46:47], v[50:51]
	v_fma_f64 v[70:71], v[71:72], -0.5, v[36:37]
	v_fma_f64 v[72:73], v[74:75], -0.5, v[38:39]
	v_add_f64 v[74:75], v[46:47], -v[50:51]
	v_add_f64 v[36:37], v[86:87], v[2:3]
	v_add_f64 v[38:39], v[64:65], v[66:67]
	;; [unrolled: 1-line block ×3, first 2 shown]
	v_fma_f64 v[64:65], v[100:101], s[8:9], v[80:81]
	v_fma_f64 v[66:67], v[102:103], s[6:7], v[82:83]
	v_lshlrev_b64 v[104:105], 4, v[68:69]
	v_fma_f64 v[68:69], v[100:101], s[6:7], v[80:81]
	s_mulk_i32 s1, 0xb410
	s_sub_i32 s1, s1, s0
	v_fma_f64 v[78:79], v[78:79], -0.5, v[42:43]
	v_add_f64 v[42:43], v[92:93], v[50:51]
	v_fma_f64 v[48:49], v[88:89], s[8:9], v[70:71]
	v_fma_f64 v[50:51], v[0:1], s[6:7], v[72:73]
	;; [unrolled: 1-line block ×7, first 2 shown]
	v_add_co_u32 v72, vcc_lo, v84, v104
	v_add_co_ci_u32_e32 v73, vcc_lo, v85, v105, vcc_lo
	v_add_co_u32 v74, vcc_lo, v72, s2
	v_add_co_ci_u32_e32 v75, vcc_lo, s3, v73, vcc_lo
	;; [unrolled: 2-line block ×3, first 2 shown]
	v_fma_f64 v[58:59], v[98:99], s[6:7], v[78:79]
	v_fma_f64 v[62:63], v[98:99], s[8:9], v[78:79]
	ds_write_b128 v173, v[36:39]
	ds_write_b128 v173, v[40:43] offset:3888
	ds_write_b128 v173, v[44:47] offset:7776
	;; [unrolled: 1-line block ×8, first 2 shown]
	s_waitcnt lgkmcnt(0)
	s_barrier
	buffer_gl0_inv
	ds_read_b128 v[36:39], v173
	ds_read_b128 v[40:43], v173 offset:11664
	ds_read_b128 v[44:47], v173 offset:23328
	;; [unrolled: 1-line block ×8, first 2 shown]
	v_mad_u64_u32 v[78:79], null, 0xffffb410, s0, v[76:77]
	v_add_nc_u32_e32 v79, s1, v79
	v_add_co_u32 v80, vcc_lo, v78, s2
	s_waitcnt lgkmcnt(8)
	v_mul_f64 v[0:1], v[181:182], v[38:39]
	v_mul_f64 v[2:3], v[181:182], v[36:37]
	s_waitcnt lgkmcnt(7)
	v_mul_f64 v[82:83], v[26:27], v[42:43]
	v_mul_f64 v[26:27], v[26:27], v[40:41]
	;; [unrolled: 3-line block ×9, first 2 shown]
	v_add_co_ci_u32_e32 v81, vcc_lo, s3, v79, vcc_lo
	v_add_co_u32 v98, vcc_lo, v80, s2
	v_fma_f64 v[0:1], v[179:180], v[36:37], v[0:1]
	v_fma_f64 v[2:3], v[179:180], v[38:39], -v[2:3]
	v_fma_f64 v[36:37], v[24:25], v[40:41], v[82:83]
	v_fma_f64 v[24:25], v[24:25], v[42:43], -v[26:27]
	;; [unrolled: 2-line block ×9, first 2 shown]
	v_add_co_ci_u32_e32 v99, vcc_lo, s3, v81, vcc_lo
	v_mul_f64 v[0:1], v[0:1], s[4:5]
	v_mul_f64 v[2:3], v[2:3], s[4:5]
	;; [unrolled: 1-line block ×8, first 2 shown]
	v_mad_u64_u32 v[52:53], null, 0xffffb410, s0, v[98:99]
	v_mul_f64 v[16:17], v[38:39], s[4:5]
	v_mul_f64 v[18:19], v[18:19], s[4:5]
	;; [unrolled: 1-line block ×10, first 2 shown]
	v_add_nc_u32_e32 v53, s1, v53
	v_add_co_u32 v36, vcc_lo, v52, s2
	v_add_co_ci_u32_e32 v37, vcc_lo, s3, v53, vcc_lo
	v_add_co_u32 v38, vcc_lo, v36, s2
	v_add_co_ci_u32_e32 v39, vcc_lo, s3, v37, vcc_lo
	global_store_dwordx4 v[72:73], v[0:3], off
	global_store_dwordx4 v[74:75], v[4:7], off
	;; [unrolled: 1-line block ×9, first 2 shown]
.LBB0_2:
	s_endpgm
	.section	.rodata,"a",@progbits
	.p2align	6, 0x0
	.amdhsa_kernel bluestein_single_fwd_len2187_dim1_dp_op_CI_CI
		.amdhsa_group_segment_fixed_size 34992
		.amdhsa_private_segment_fixed_size 28
		.amdhsa_kernarg_size 104
		.amdhsa_user_sgpr_count 6
		.amdhsa_user_sgpr_private_segment_buffer 1
		.amdhsa_user_sgpr_dispatch_ptr 0
		.amdhsa_user_sgpr_queue_ptr 0
		.amdhsa_user_sgpr_kernarg_segment_ptr 1
		.amdhsa_user_sgpr_dispatch_id 0
		.amdhsa_user_sgpr_flat_scratch_init 0
		.amdhsa_user_sgpr_private_segment_size 0
		.amdhsa_wavefront_size32 1
		.amdhsa_uses_dynamic_stack 0
		.amdhsa_system_sgpr_private_segment_wavefront_offset 1
		.amdhsa_system_sgpr_workgroup_id_x 1
		.amdhsa_system_sgpr_workgroup_id_y 0
		.amdhsa_system_sgpr_workgroup_id_z 0
		.amdhsa_system_sgpr_workgroup_info 0
		.amdhsa_system_vgpr_workitem_id 0
		.amdhsa_next_free_vgpr 256
		.amdhsa_next_free_sgpr 24
		.amdhsa_reserve_vcc 1
		.amdhsa_reserve_flat_scratch 0
		.amdhsa_float_round_mode_32 0
		.amdhsa_float_round_mode_16_64 0
		.amdhsa_float_denorm_mode_32 3
		.amdhsa_float_denorm_mode_16_64 3
		.amdhsa_dx10_clamp 1
		.amdhsa_ieee_mode 1
		.amdhsa_fp16_overflow 0
		.amdhsa_workgroup_processor_mode 1
		.amdhsa_memory_ordered 1
		.amdhsa_forward_progress 0
		.amdhsa_shared_vgpr_count 0
		.amdhsa_exception_fp_ieee_invalid_op 0
		.amdhsa_exception_fp_denorm_src 0
		.amdhsa_exception_fp_ieee_div_zero 0
		.amdhsa_exception_fp_ieee_overflow 0
		.amdhsa_exception_fp_ieee_underflow 0
		.amdhsa_exception_fp_ieee_inexact 0
		.amdhsa_exception_int_div_zero 0
	.end_amdhsa_kernel
	.text
.Lfunc_end0:
	.size	bluestein_single_fwd_len2187_dim1_dp_op_CI_CI, .Lfunc_end0-bluestein_single_fwd_len2187_dim1_dp_op_CI_CI
                                        ; -- End function
	.section	.AMDGPU.csdata,"",@progbits
; Kernel info:
; codeLenInByte = 14264
; NumSgprs: 26
; NumVgprs: 256
; ScratchSize: 28
; MemoryBound: 0
; FloatMode: 240
; IeeeMode: 1
; LDSByteSize: 34992 bytes/workgroup (compile time only)
; SGPRBlocks: 3
; VGPRBlocks: 31
; NumSGPRsForWavesPerEU: 26
; NumVGPRsForWavesPerEU: 256
; Occupancy: 4
; WaveLimiterHint : 1
; COMPUTE_PGM_RSRC2:SCRATCH_EN: 1
; COMPUTE_PGM_RSRC2:USER_SGPR: 6
; COMPUTE_PGM_RSRC2:TRAP_HANDLER: 0
; COMPUTE_PGM_RSRC2:TGID_X_EN: 1
; COMPUTE_PGM_RSRC2:TGID_Y_EN: 0
; COMPUTE_PGM_RSRC2:TGID_Z_EN: 0
; COMPUTE_PGM_RSRC2:TIDIG_COMP_CNT: 0
	.text
	.p2alignl 6, 3214868480
	.fill 48, 4, 3214868480
	.type	__hip_cuid_25e926d3018b7a1,@object ; @__hip_cuid_25e926d3018b7a1
	.section	.bss,"aw",@nobits
	.globl	__hip_cuid_25e926d3018b7a1
__hip_cuid_25e926d3018b7a1:
	.byte	0                               ; 0x0
	.size	__hip_cuid_25e926d3018b7a1, 1

	.ident	"AMD clang version 19.0.0git (https://github.com/RadeonOpenCompute/llvm-project roc-6.4.0 25133 c7fe45cf4b819c5991fe208aaa96edf142730f1d)"
	.section	".note.GNU-stack","",@progbits
	.addrsig
	.addrsig_sym __hip_cuid_25e926d3018b7a1
	.amdgpu_metadata
---
amdhsa.kernels:
  - .args:
      - .actual_access:  read_only
        .address_space:  global
        .offset:         0
        .size:           8
        .value_kind:     global_buffer
      - .actual_access:  read_only
        .address_space:  global
        .offset:         8
        .size:           8
        .value_kind:     global_buffer
      - .actual_access:  read_only
        .address_space:  global
        .offset:         16
        .size:           8
        .value_kind:     global_buffer
      - .actual_access:  read_only
        .address_space:  global
        .offset:         24
        .size:           8
        .value_kind:     global_buffer
      - .actual_access:  read_only
        .address_space:  global
        .offset:         32
        .size:           8
        .value_kind:     global_buffer
      - .offset:         40
        .size:           8
        .value_kind:     by_value
      - .address_space:  global
        .offset:         48
        .size:           8
        .value_kind:     global_buffer
      - .address_space:  global
        .offset:         56
        .size:           8
        .value_kind:     global_buffer
      - .address_space:  global
        .offset:         64
        .size:           8
        .value_kind:     global_buffer
      - .address_space:  global
        .offset:         72
        .size:           8
        .value_kind:     global_buffer
      - .offset:         80
        .size:           4
        .value_kind:     by_value
      - .address_space:  global
        .offset:         88
        .size:           8
        .value_kind:     global_buffer
      - .address_space:  global
        .offset:         96
        .size:           8
        .value_kind:     global_buffer
    .group_segment_fixed_size: 34992
    .kernarg_segment_align: 8
    .kernarg_segment_size: 104
    .language:       OpenCL C
    .language_version:
      - 2
      - 0
    .max_flat_workgroup_size: 243
    .name:           bluestein_single_fwd_len2187_dim1_dp_op_CI_CI
    .private_segment_fixed_size: 28
    .sgpr_count:     26
    .sgpr_spill_count: 0
    .symbol:         bluestein_single_fwd_len2187_dim1_dp_op_CI_CI.kd
    .uniform_work_group_size: 1
    .uses_dynamic_stack: false
    .vgpr_count:     256
    .vgpr_spill_count: 6
    .wavefront_size: 32
    .workgroup_processor_mode: 1
amdhsa.target:   amdgcn-amd-amdhsa--gfx1030
amdhsa.version:
  - 1
  - 2
...

	.end_amdgpu_metadata
